;; amdgpu-corpus repo=ROCm/rocFFT kind=compiled arch=gfx906 opt=O3
	.text
	.amdgcn_target "amdgcn-amd-amdhsa--gfx906"
	.amdhsa_code_object_version 6
	.protected	fft_rtc_back_len968_factors_2_2_2_11_11_wgs_176_tpt_88_dp_op_CI_CI_unitstride_sbrr_dirReg ; -- Begin function fft_rtc_back_len968_factors_2_2_2_11_11_wgs_176_tpt_88_dp_op_CI_CI_unitstride_sbrr_dirReg
	.globl	fft_rtc_back_len968_factors_2_2_2_11_11_wgs_176_tpt_88_dp_op_CI_CI_unitstride_sbrr_dirReg
	.p2align	8
	.type	fft_rtc_back_len968_factors_2_2_2_11_11_wgs_176_tpt_88_dp_op_CI_CI_unitstride_sbrr_dirReg,@function
fft_rtc_back_len968_factors_2_2_2_11_11_wgs_176_tpt_88_dp_op_CI_CI_unitstride_sbrr_dirReg: ; @fft_rtc_back_len968_factors_2_2_2_11_11_wgs_176_tpt_88_dp_op_CI_CI_unitstride_sbrr_dirReg
; %bb.0:
	s_load_dwordx4 s[8:11], s[4:5], 0x58
	s_load_dwordx4 s[12:15], s[4:5], 0x0
	;; [unrolled: 1-line block ×3, first 2 shown]
	v_mul_u32_u24_e32 v1, 0x2e9, v0
	v_lshrrev_b32_e32 v48, 16, v1
	v_mov_b32_e32 v1, 0
	s_waitcnt lgkmcnt(0)
	v_cmp_lt_u64_e64 s[0:1], s[14:15], 2
	v_mov_b32_e32 v4, 0
	v_lshl_add_u32 v6, s6, 1, v48
	v_mov_b32_e32 v7, v1
	s_and_b64 vcc, exec, s[0:1]
	v_mov_b32_e32 v5, 0
	s_cbranch_vccnz .LBB0_8
; %bb.1:
	s_load_dwordx2 s[0:1], s[4:5], 0x10
	s_add_u32 s2, s18, 8
	s_addc_u32 s3, s19, 0
	s_add_u32 s6, s16, 8
	v_mov_b32_e32 v4, 0
	s_addc_u32 s7, s17, 0
	v_mov_b32_e32 v5, 0
	s_waitcnt lgkmcnt(0)
	s_add_u32 s20, s0, 8
	v_mov_b32_e32 v53, v5
	s_addc_u32 s21, s1, 0
	s_mov_b64 s[22:23], 1
	v_mov_b32_e32 v52, v4
.LBB0_2:                                ; =>This Inner Loop Header: Depth=1
	s_load_dwordx2 s[24:25], s[20:21], 0x0
                                        ; implicit-def: $vgpr54_vgpr55
	s_waitcnt lgkmcnt(0)
	v_or_b32_e32 v2, s25, v7
	v_cmp_ne_u64_e32 vcc, 0, v[1:2]
	s_and_saveexec_b64 s[0:1], vcc
	s_xor_b64 s[26:27], exec, s[0:1]
	s_cbranch_execz .LBB0_4
; %bb.3:                                ;   in Loop: Header=BB0_2 Depth=1
	v_cvt_f32_u32_e32 v2, s24
	v_cvt_f32_u32_e32 v3, s25
	s_sub_u32 s0, 0, s24
	s_subb_u32 s1, 0, s25
	v_mac_f32_e32 v2, 0x4f800000, v3
	v_rcp_f32_e32 v2, v2
	v_mul_f32_e32 v2, 0x5f7ffffc, v2
	v_mul_f32_e32 v3, 0x2f800000, v2
	v_trunc_f32_e32 v3, v3
	v_mac_f32_e32 v2, 0xcf800000, v3
	v_cvt_u32_f32_e32 v3, v3
	v_cvt_u32_f32_e32 v2, v2
	v_mul_lo_u32 v8, s0, v3
	v_mul_hi_u32 v9, s0, v2
	v_mul_lo_u32 v11, s1, v2
	v_mul_lo_u32 v10, s0, v2
	v_add_u32_e32 v8, v9, v8
	v_add_u32_e32 v8, v8, v11
	v_mul_hi_u32 v9, v2, v10
	v_mul_lo_u32 v11, v2, v8
	v_mul_hi_u32 v13, v2, v8
	v_mul_hi_u32 v12, v3, v10
	v_mul_lo_u32 v10, v3, v10
	v_mul_hi_u32 v14, v3, v8
	v_add_co_u32_e32 v9, vcc, v9, v11
	v_addc_co_u32_e32 v11, vcc, 0, v13, vcc
	v_mul_lo_u32 v8, v3, v8
	v_add_co_u32_e32 v9, vcc, v9, v10
	v_addc_co_u32_e32 v9, vcc, v11, v12, vcc
	v_addc_co_u32_e32 v10, vcc, 0, v14, vcc
	v_add_co_u32_e32 v8, vcc, v9, v8
	v_addc_co_u32_e32 v9, vcc, 0, v10, vcc
	v_add_co_u32_e32 v2, vcc, v2, v8
	v_addc_co_u32_e32 v3, vcc, v3, v9, vcc
	v_mul_lo_u32 v8, s0, v3
	v_mul_hi_u32 v9, s0, v2
	v_mul_lo_u32 v10, s1, v2
	v_mul_lo_u32 v11, s0, v2
	v_add_u32_e32 v8, v9, v8
	v_add_u32_e32 v8, v8, v10
	v_mul_lo_u32 v12, v2, v8
	v_mul_hi_u32 v13, v2, v11
	v_mul_hi_u32 v14, v2, v8
	;; [unrolled: 1-line block ×3, first 2 shown]
	v_mul_lo_u32 v11, v3, v11
	v_mul_hi_u32 v9, v3, v8
	v_add_co_u32_e32 v12, vcc, v13, v12
	v_addc_co_u32_e32 v13, vcc, 0, v14, vcc
	v_mul_lo_u32 v8, v3, v8
	v_add_co_u32_e32 v11, vcc, v12, v11
	v_addc_co_u32_e32 v10, vcc, v13, v10, vcc
	v_addc_co_u32_e32 v9, vcc, 0, v9, vcc
	v_add_co_u32_e32 v8, vcc, v10, v8
	v_addc_co_u32_e32 v9, vcc, 0, v9, vcc
	v_add_co_u32_e32 v8, vcc, v2, v8
	v_addc_co_u32_e32 v9, vcc, v3, v9, vcc
	v_mad_u64_u32 v[2:3], s[0:1], v6, v9, 0
	v_mul_hi_u32 v10, v6, v8
	v_add_co_u32_e32 v10, vcc, v10, v2
	v_addc_co_u32_e32 v11, vcc, 0, v3, vcc
	v_mad_u64_u32 v[2:3], s[0:1], v7, v8, 0
	v_mad_u64_u32 v[8:9], s[0:1], v7, v9, 0
	v_add_co_u32_e32 v2, vcc, v10, v2
	v_addc_co_u32_e32 v2, vcc, v11, v3, vcc
	v_addc_co_u32_e32 v3, vcc, 0, v9, vcc
	v_add_co_u32_e32 v8, vcc, v2, v8
	v_addc_co_u32_e32 v9, vcc, 0, v3, vcc
	v_mul_lo_u32 v10, s25, v8
	v_mul_lo_u32 v11, s24, v9
	v_mad_u64_u32 v[2:3], s[0:1], s24, v8, 0
	v_add3_u32 v3, v3, v11, v10
	v_sub_u32_e32 v10, v7, v3
	v_mov_b32_e32 v11, s25
	v_sub_co_u32_e32 v2, vcc, v6, v2
	v_subb_co_u32_e64 v10, s[0:1], v10, v11, vcc
	v_subrev_co_u32_e64 v11, s[0:1], s24, v2
	v_subbrev_co_u32_e64 v10, s[0:1], 0, v10, s[0:1]
	v_cmp_le_u32_e64 s[0:1], s25, v10
	v_cndmask_b32_e64 v12, 0, -1, s[0:1]
	v_cmp_le_u32_e64 s[0:1], s24, v11
	v_cndmask_b32_e64 v11, 0, -1, s[0:1]
	v_cmp_eq_u32_e64 s[0:1], s25, v10
	v_cndmask_b32_e64 v10, v12, v11, s[0:1]
	v_add_co_u32_e64 v11, s[0:1], 2, v8
	v_addc_co_u32_e64 v12, s[0:1], 0, v9, s[0:1]
	v_add_co_u32_e64 v13, s[0:1], 1, v8
	v_addc_co_u32_e64 v14, s[0:1], 0, v9, s[0:1]
	v_subb_co_u32_e32 v3, vcc, v7, v3, vcc
	v_cmp_ne_u32_e64 s[0:1], 0, v10
	v_cmp_le_u32_e32 vcc, s25, v3
	v_cndmask_b32_e64 v10, v14, v12, s[0:1]
	v_cndmask_b32_e64 v12, 0, -1, vcc
	v_cmp_le_u32_e32 vcc, s24, v2
	v_cndmask_b32_e64 v2, 0, -1, vcc
	v_cmp_eq_u32_e32 vcc, s25, v3
	v_cndmask_b32_e32 v2, v12, v2, vcc
	v_cmp_ne_u32_e32 vcc, 0, v2
	v_cndmask_b32_e64 v2, v13, v11, s[0:1]
	v_cndmask_b32_e32 v55, v9, v10, vcc
	v_cndmask_b32_e32 v54, v8, v2, vcc
.LBB0_4:                                ;   in Loop: Header=BB0_2 Depth=1
	s_andn2_saveexec_b64 s[0:1], s[26:27]
	s_cbranch_execz .LBB0_6
; %bb.5:                                ;   in Loop: Header=BB0_2 Depth=1
	v_cvt_f32_u32_e32 v2, s24
	s_sub_i32 s26, 0, s24
	v_mov_b32_e32 v55, v1
	v_rcp_iflag_f32_e32 v2, v2
	v_mul_f32_e32 v2, 0x4f7ffffe, v2
	v_cvt_u32_f32_e32 v2, v2
	v_mul_lo_u32 v3, s26, v2
	v_mul_hi_u32 v3, v2, v3
	v_add_u32_e32 v2, v2, v3
	v_mul_hi_u32 v2, v6, v2
	v_mul_lo_u32 v3, v2, s24
	v_add_u32_e32 v8, 1, v2
	v_sub_u32_e32 v3, v6, v3
	v_subrev_u32_e32 v9, s24, v3
	v_cmp_le_u32_e32 vcc, s24, v3
	v_cndmask_b32_e32 v3, v3, v9, vcc
	v_cndmask_b32_e32 v2, v2, v8, vcc
	v_add_u32_e32 v8, 1, v2
	v_cmp_le_u32_e32 vcc, s24, v3
	v_cndmask_b32_e32 v54, v2, v8, vcc
.LBB0_6:                                ;   in Loop: Header=BB0_2 Depth=1
	s_or_b64 exec, exec, s[0:1]
	v_mul_lo_u32 v8, v55, s24
	v_mul_lo_u32 v9, v54, s25
	v_mad_u64_u32 v[2:3], s[0:1], v54, s24, 0
	s_load_dwordx2 s[0:1], s[6:7], 0x0
	s_load_dwordx2 s[24:25], s[2:3], 0x0
	v_add3_u32 v3, v3, v9, v8
	v_sub_co_u32_e32 v2, vcc, v6, v2
	v_subb_co_u32_e32 v3, vcc, v7, v3, vcc
	s_waitcnt lgkmcnt(0)
	v_mul_lo_u32 v6, s0, v3
	v_mul_lo_u32 v7, s1, v2
	v_mad_u64_u32 v[4:5], s[0:1], s0, v2, v[4:5]
	v_mul_lo_u32 v3, s24, v3
	v_mul_lo_u32 v8, s25, v2
	v_mad_u64_u32 v[52:53], s[0:1], s24, v2, v[52:53]
	s_add_u32 s22, s22, 1
	s_addc_u32 s23, s23, 0
	s_add_u32 s2, s2, 8
	v_add3_u32 v53, v8, v53, v3
	s_addc_u32 s3, s3, 0
	v_mov_b32_e32 v2, s14
	s_add_u32 s6, s6, 8
	v_mov_b32_e32 v3, s15
	s_addc_u32 s7, s7, 0
	v_cmp_ge_u64_e32 vcc, s[22:23], v[2:3]
	s_add_u32 s20, s20, 8
	v_add3_u32 v5, v7, v5, v6
	s_addc_u32 s21, s21, 0
	s_cbranch_vccnz .LBB0_9
; %bb.7:                                ;   in Loop: Header=BB0_2 Depth=1
	v_mov_b32_e32 v6, v54
	v_mov_b32_e32 v7, v55
	s_branch .LBB0_2
.LBB0_8:
	v_mov_b32_e32 v53, v5
	v_mov_b32_e32 v55, v7
	;; [unrolled: 1-line block ×4, first 2 shown]
.LBB0_9:
	s_load_dwordx2 s[4:5], s[4:5], 0x28
	s_lshl_b64 s[6:7], s[14:15], 3
	s_add_u32 s2, s18, s6
	s_addc_u32 s3, s19, s7
                                        ; implicit-def: $sgpr14
                                        ; implicit-def: $vgpr57
	s_waitcnt lgkmcnt(0)
	v_cmp_gt_u64_e64 s[0:1], s[4:5], v[54:55]
	v_cmp_le_u64_e32 vcc, s[4:5], v[54:55]
	s_and_saveexec_b64 s[4:5], vcc
	s_xor_b64 s[4:5], exec, s[4:5]
; %bb.10:
	s_mov_b32 s14, 0x2e8ba2f
	v_mul_hi_u32 v1, v0, s14
	s_mov_b32 s14, 0
                                        ; implicit-def: $vgpr4_vgpr5
	v_mul_u32_u24_e32 v1, 0x58, v1
	v_sub_u32_e32 v57, v0, v1
                                        ; implicit-def: $vgpr0
; %bb.11:
	s_or_saveexec_b64 s[4:5], s[4:5]
	s_load_dwordx2 s[2:3], s[2:3], 0x0
	v_mov_b32_e32 v56, s14
                                        ; implicit-def: $vgpr34_vgpr35
                                        ; implicit-def: $vgpr26_vgpr27
                                        ; implicit-def: $vgpr18_vgpr19
                                        ; implicit-def: $vgpr2_vgpr3
                                        ; implicit-def: $vgpr30_vgpr31
                                        ; implicit-def: $vgpr10_vgpr11
                                        ; implicit-def: $vgpr6_vgpr7
                                        ; implicit-def: $vgpr14_vgpr15
                                        ; implicit-def: $vgpr22_vgpr23
                                        ; implicit-def: $vgpr42_vgpr43
                                        ; implicit-def: $vgpr38_vgpr39
                                        ; implicit-def: $vgpr46_vgpr47
	s_xor_b64 exec, exec, s[4:5]
	s_cbranch_execz .LBB0_15
; %bb.12:
	s_add_u32 s6, s16, s6
	s_addc_u32 s7, s17, s7
	s_load_dwordx2 s[6:7], s[6:7], 0x0
	s_mov_b32 s14, 0x2e8ba2f
	v_mul_hi_u32 v3, v0, s14
	s_waitcnt lgkmcnt(0)
	v_mul_lo_u32 v6, s7, v54
	v_mul_lo_u32 v7, s6, v55
	v_mad_u64_u32 v[1:2], s[6:7], s6, v54, 0
	v_mul_u32_u24_e32 v3, 0x58, v3
	v_sub_u32_e32 v57, v0, v3
	v_add3_u32 v2, v2, v7, v6
	v_lshlrev_b64 v[0:1], 4, v[1:2]
	v_mov_b32_e32 v2, s9
	v_add_co_u32_e32 v3, vcc, s8, v0
	v_addc_co_u32_e32 v2, vcc, v2, v1, vcc
	v_lshlrev_b64 v[0:1], 4, v[4:5]
	s_movk_i32 s6, 0x1000
	v_add_co_u32_e32 v0, vcc, v3, v0
	v_addc_co_u32_e32 v1, vcc, v2, v1, vcc
	v_lshlrev_b32_e32 v2, 4, v57
	v_add_co_u32_e32 v26, vcc, v0, v2
	v_addc_co_u32_e32 v27, vcc, 0, v1, vcc
	v_add_co_u32_e32 v24, vcc, s6, v26
	v_addc_co_u32_e32 v25, vcc, 0, v27, vcc
	s_movk_i32 s6, 0x2000
	v_add_co_u32_e32 v32, vcc, s6, v26
	v_addc_co_u32_e32 v33, vcc, 0, v27, vcc
	v_add_co_u32_e32 v34, vcc, 0x3000, v26
	global_load_dwordx4 v[20:23], v[32:33], off offset:960
	global_load_dwordx4 v[4:7], v[32:33], off offset:2368
	;; [unrolled: 1-line block ×4, first 2 shown]
	v_addc_co_u32_e32 v35, vcc, 0, v27, vcc
	global_load_dwordx4 v[28:31], v[32:33], off offset:3776
	global_load_dwordx4 v[16:19], v[34:35], off offset:1088
	;; [unrolled: 1-line block ×4, first 2 shown]
	global_load_dwordx4 v[44:47], v[26:27], off
	global_load_dwordx4 v[40:43], v[26:27], off offset:1408
	v_cmp_gt_u32_e32 vcc, 44, v57
                                        ; implicit-def: $vgpr24_vgpr25
                                        ; implicit-def: $vgpr32_vgpr33
	s_and_saveexec_b64 s[6:7], vcc
	s_cbranch_execz .LBB0_14
; %bb.13:
	v_add_co_u32_e32 v49, vcc, 0x1000, v26
	v_addc_co_u32_e32 v50, vcc, 0, v27, vcc
	v_add_co_u32_e32 v58, vcc, 0x3000, v26
	v_addc_co_u32_e32 v59, vcc, 0, v27, vcc
	global_load_dwordx4 v[24:27], v[49:50], off offset:2944
	global_load_dwordx4 v[32:35], v[58:59], off offset:2496
.LBB0_14:
	s_or_b64 exec, exec, s[6:7]
	v_mov_b32_e32 v56, v57
.LBB0_15:
	s_or_b64 exec, exec, s[4:5]
	s_waitcnt vmcnt(1)
	v_add_f64 v[36:37], v[44:45], -v[36:37]
	v_add_f64 v[38:39], v[46:47], -v[38:39]
	s_waitcnt vmcnt(0)
	v_add_f64 v[20:21], v[40:41], -v[20:21]
	v_add_f64 v[22:23], v[42:43], -v[22:23]
	;; [unrolled: 1-line block ×8, first 2 shown]
	v_fma_f64 v[44:45], v[44:45], 2.0, -v[36:37]
	v_fma_f64 v[46:47], v[46:47], 2.0, -v[38:39]
	v_add_f64 v[18:19], v[2:3], -v[18:19]
	v_add_f64 v[6:7], v[26:27], -v[34:35]
	v_fma_f64 v[40:41], v[40:41], 2.0, -v[20:21]
	v_fma_f64 v[42:43], v[42:43], 2.0, -v[22:23]
	v_and_b32_e32 v48, 1, v48
	v_mov_b32_e32 v49, 0x3c8
	v_cmp_eq_u32_e32 vcc, 1, v48
	v_fma_f64 v[12:13], v[12:13], 2.0, -v[61:62]
	v_fma_f64 v[14:15], v[14:15], 2.0, -v[63:64]
	v_cndmask_b32_e32 v48, 0, v49, vcc
	v_fma_f64 v[8:9], v[8:9], 2.0, -v[28:29]
	v_fma_f64 v[10:11], v[10:11], 2.0, -v[30:31]
	;; [unrolled: 1-line block ×4, first 2 shown]
	v_lshlrev_b32_e32 v24, 5, v57
	v_lshlrev_b32_e32 v60, 4, v48
	v_add3_u32 v24, 0, v24, v60
	v_add_u32_e32 v49, 0x58, v57
	v_fma_f64 v[34:35], v[2:3], 2.0, -v[18:19]
	v_fma_f64 v[2:3], v[26:27], 2.0, -v[6:7]
	ds_write_b128 v24, v[44:47]
	ds_write_b128 v24, v[36:39] offset:16
	v_lshlrev_b32_e32 v24, 5, v49
	v_add3_u32 v24, 0, v24, v60
	v_add_u32_e32 v50, 0xb0, v57
	ds_write_b128 v24, v[40:43]
	ds_write_b128 v24, v[20:23] offset:16
	v_lshlrev_b32_e32 v20, 5, v50
	v_add3_u32 v20, 0, v20, v60
	v_add_u32_e32 v51, 0x108, v57
	ds_write_b128 v20, v[12:15]
	ds_write_b128 v20, v[61:64] offset:16
	v_lshlrev_b32_e32 v12, 5, v51
	v_add3_u32 v12, 0, v12, v60
	v_add_u32_e32 v61, 0x160, v57
	ds_write_b128 v12, v[8:11]
	ds_write_b128 v12, v[28:31] offset:16
	v_lshlrev_b32_e32 v8, 5, v61
	v_add3_u32 v8, 0, v8, v60
	v_add_u32_e32 v48, 0x1b8, v57
	v_cmp_gt_u32_e32 vcc, 44, v57
	ds_write_b128 v8, v[32:35]
	ds_write_b128 v8, v[16:19] offset:16
	s_and_saveexec_b64 s[4:5], vcc
	s_cbranch_execz .LBB0_17
; %bb.16:
	v_lshlrev_b32_e32 v8, 5, v48
	v_add3_u32 v8, 0, v8, v60
	ds_write_b128 v8, v[0:3]
	ds_write_b128 v8, v[4:7] offset:16
.LBB0_17:
	s_or_b64 exec, exec, s[4:5]
	v_lshlrev_b32_e32 v8, 4, v57
	v_add3_u32 v59, 0, v60, v8
	s_waitcnt lgkmcnt(0)
	s_barrier
	v_add3_u32 v58, 0, v8, v60
	ds_read_b128 v[8:11], v59
	ds_read_b128 v[12:15], v58 offset:1408
	ds_read_b128 v[28:31], v58 offset:9152
	ds_read_b128 v[32:35], v58 offset:10560
	ds_read_b128 v[20:23], v58 offset:2816
	ds_read_b128 v[16:19], v58 offset:4224
	ds_read_b128 v[44:47], v58 offset:7744
	ds_read_b128 v[24:27], v58 offset:5632
	ds_read_b128 v[40:43], v58 offset:11968
	ds_read_b128 v[36:39], v58 offset:13376
	v_lshlrev_b32_e32 v64, 1, v57
	v_lshlrev_b32_e32 v65, 1, v49
	;; [unrolled: 1-line block ×5, first 2 shown]
	s_and_saveexec_b64 s[4:5], vcc
	s_cbranch_execz .LBB0_19
; %bb.18:
	ds_read_b128 v[0:3], v58 offset:7040
	ds_read_b128 v[4:7], v58 offset:14784
.LBB0_19:
	s_or_b64 exec, exec, s[4:5]
	v_and_b32_e32 v49, 1, v57
	v_lshlrev_b32_e32 v50, 4, v49
	global_load_dwordx4 v[66:69], v50, s[12:13]
	s_movk_i32 s4, 0xfc
	s_movk_i32 s5, 0x1fc
	;; [unrolled: 1-line block ×3, first 2 shown]
	v_and_or_b32 v50, v64, s4, v49
	v_and_or_b32 v51, v65, s5, v49
	;; [unrolled: 1-line block ×5, first 2 shown]
	v_lshlrev_b32_e32 v50, 4, v50
	v_lshlrev_b32_e32 v51, 4, v51
	;; [unrolled: 1-line block ×5, first 2 shown]
	v_add3_u32 v90, 0, v50, v60
	v_add3_u32 v91, 0, v51, v60
	;; [unrolled: 1-line block ×5, first 2 shown]
	s_waitcnt vmcnt(0) lgkmcnt(0)
	s_barrier
	v_mul_f64 v[50:51], v[46:47], v[68:69]
	v_mul_f64 v[70:71], v[44:45], v[68:69]
	;; [unrolled: 1-line block ×12, first 2 shown]
	v_fma_f64 v[44:45], v[44:45], v[66:67], v[50:51]
	v_fma_f64 v[46:47], v[46:47], v[66:67], -v[70:71]
	v_fma_f64 v[50:51], v[28:29], v[66:67], v[72:73]
	v_fma_f64 v[70:71], v[30:31], v[66:67], -v[74:75]
	;; [unrolled: 2-line block ×6, first 2 shown]
	v_add_f64 v[28:29], v[8:9], -v[44:45]
	v_add_f64 v[30:31], v[10:11], -v[46:47]
	;; [unrolled: 1-line block ×12, first 2 shown]
	v_fma_f64 v[0:1], v[0:1], 2.0, -v[4:5]
	v_fma_f64 v[2:3], v[2:3], 2.0, -v[6:7]
	;; [unrolled: 1-line block ×10, first 2 shown]
	v_lshlrev_b32_e32 v66, 1, v48
	v_fma_f64 v[24:25], v[24:25], 2.0, -v[44:45]
	v_fma_f64 v[26:27], v[26:27], 2.0, -v[46:47]
	ds_write_b128 v90, v[28:31] offset:32
	ds_write_b128 v90, v[8:11]
	ds_write_b128 v91, v[12:15]
	ds_write_b128 v91, v[32:35] offset:32
	ds_write_b128 v92, v[20:23]
	ds_write_b128 v92, v[36:39] offset:32
	;; [unrolled: 2-line block ×4, first 2 shown]
	s_and_saveexec_b64 s[4:5], vcc
	s_cbranch_execz .LBB0_21
; %bb.20:
	v_and_or_b32 v8, v66, s6, v49
	v_lshlrev_b32_e32 v8, 4, v8
	v_add3_u32 v8, 0, v8, v60
	ds_write_b128 v8, v[0:3]
	ds_write_b128 v8, v[4:7] offset:32
.LBB0_21:
	s_or_b64 exec, exec, s[4:5]
	s_waitcnt lgkmcnt(0)
	s_barrier
	ds_read_b128 v[28:31], v59
	ds_read_b128 v[20:23], v58 offset:1408
	ds_read_b128 v[40:43], v58 offset:9152
	;; [unrolled: 1-line block ×9, first 2 shown]
	s_and_saveexec_b64 s[4:5], vcc
	s_cbranch_execz .LBB0_23
; %bb.22:
	ds_read_b128 v[0:3], v58 offset:7040
	ds_read_b128 v[4:7], v58 offset:14784
.LBB0_23:
	s_or_b64 exec, exec, s[4:5]
	v_and_b32_e32 v67, 3, v57
	v_lshlrev_b32_e32 v8, 4, v67
	global_load_dwordx4 v[8:11], v8, s[12:13] offset:32
	s_movk_i32 s4, 0xf8
	v_and_or_b32 v64, v64, s4, v67
	v_lshlrev_b32_e32 v64, 4, v64
	v_add3_u32 v64, 0, v64, v60
	s_movk_i32 s4, 0x1f8
	s_waitcnt vmcnt(0) lgkmcnt(0)
	s_barrier
	s_movk_i32 s6, 0x3f8
	v_mul_f64 v[68:69], v[50:51], v[10:11]
	v_fma_f64 v[68:69], v[48:49], v[8:9], v[68:69]
	v_mul_f64 v[48:49], v[48:49], v[10:11]
	v_fma_f64 v[48:49], v[50:51], v[8:9], -v[48:49]
	v_mul_f64 v[50:51], v[42:43], v[10:11]
	v_fma_f64 v[50:51], v[40:41], v[8:9], v[50:51]
	v_mul_f64 v[40:41], v[40:41], v[10:11]
	v_fma_f64 v[40:41], v[42:43], v[8:9], -v[40:41]
	;; [unrolled: 4-line block ×3, first 2 shown]
	v_mul_f64 v[36:37], v[46:47], v[10:11]
	v_add_f64 v[38:39], v[22:23], -v[40:41]
	v_add_f64 v[40:41], v[24:25], -v[42:43]
	;; [unrolled: 1-line block ×3, first 2 shown]
	v_fma_f64 v[72:73], v[44:45], v[8:9], v[36:37]
	v_mul_f64 v[36:37], v[44:45], v[10:11]
	v_fma_f64 v[22:23], v[22:23], 2.0, -v[38:39]
	v_fma_f64 v[24:25], v[24:25], 2.0, -v[40:41]
	;; [unrolled: 1-line block ×3, first 2 shown]
	v_add_f64 v[44:45], v[16:17], -v[72:73]
	v_fma_f64 v[46:47], v[46:47], v[8:9], -v[36:37]
	v_mul_f64 v[36:37], v[34:35], v[10:11]
	v_fma_f64 v[16:17], v[16:17], 2.0, -v[44:45]
	v_add_f64 v[46:47], v[18:19], -v[46:47]
	v_fma_f64 v[74:75], v[32:33], v[8:9], v[36:37]
	v_mul_f64 v[32:33], v[32:33], v[10:11]
	v_add_f64 v[36:37], v[20:21], -v[50:51]
	v_fma_f64 v[18:19], v[18:19], 2.0, -v[46:47]
	v_fma_f64 v[76:77], v[34:35], v[8:9], -v[32:33]
	v_add_f64 v[32:33], v[28:29], -v[68:69]
	v_add_f64 v[34:35], v[30:31], -v[48:49]
	v_fma_f64 v[20:21], v[20:21], 2.0, -v[36:37]
	v_add_f64 v[48:49], v[12:13], -v[74:75]
	v_add_f64 v[50:51], v[14:15], -v[76:77]
	v_fma_f64 v[28:29], v[28:29], 2.0, -v[32:33]
	v_fma_f64 v[30:31], v[30:31], 2.0, -v[34:35]
	ds_write_b128 v64, v[28:31]
	ds_write_b128 v64, v[32:35] offset:64
	v_and_or_b32 v28, v65, s4, v67
	v_lshlrev_b32_e32 v28, 4, v28
	v_add3_u32 v28, 0, v28, v60
	ds_write_b128 v28, v[20:23]
	ds_write_b128 v28, v[36:39] offset:64
	v_and_or_b32 v20, v63, s6, v67
	v_fma_f64 v[12:13], v[12:13], 2.0, -v[48:49]
	v_fma_f64 v[14:15], v[14:15], 2.0, -v[50:51]
	v_lshlrev_b32_e32 v20, 4, v20
	v_add3_u32 v20, 0, v20, v60
	ds_write_b128 v20, v[24:27]
	ds_write_b128 v20, v[40:43] offset:64
	v_and_or_b32 v20, v62, s6, v67
	v_lshlrev_b32_e32 v20, 4, v20
	v_add3_u32 v20, 0, v20, v60
	ds_write_b128 v20, v[16:19]
	ds_write_b128 v20, v[44:47] offset:64
	v_and_or_b32 v16, v61, s6, v67
	v_lshlrev_b32_e32 v16, 4, v16
	v_add3_u32 v16, 0, v16, v60
	ds_write_b128 v16, v[12:15]
	ds_write_b128 v16, v[48:51] offset:64
	s_and_saveexec_b64 s[4:5], vcc
	s_cbranch_execz .LBB0_25
; %bb.24:
	v_mul_f64 v[12:13], v[4:5], v[10:11]
	v_mul_f64 v[10:11], v[6:7], v[10:11]
	v_fma_f64 v[6:7], v[6:7], v[8:9], -v[12:13]
	v_fma_f64 v[4:5], v[4:5], v[8:9], v[10:11]
	v_and_or_b32 v8, v66, s6, v67
	v_lshlrev_b32_e32 v8, 4, v8
	v_add3_u32 v8, 0, v8, v60
	v_add_f64 v[6:7], v[2:3], -v[6:7]
	v_add_f64 v[4:5], v[0:1], -v[4:5]
	v_fma_f64 v[2:3], v[2:3], 2.0, -v[6:7]
	v_fma_f64 v[0:1], v[0:1], 2.0, -v[4:5]
	ds_write_b128 v8, v[0:3]
	ds_write_b128 v8, v[4:7] offset:64
.LBB0_25:
	s_or_b64 exec, exec, s[4:5]
	v_and_b32_e32 v0, 7, v57
	v_mul_u32_u24_e32 v1, 10, v0
	v_lshlrev_b32_e32 v41, 4, v1
	s_waitcnt lgkmcnt(0)
	s_barrier
	global_load_dwordx4 v[1:4], v41, s[12:13] offset:96
	global_load_dwordx4 v[5:8], v41, s[12:13] offset:112
	;; [unrolled: 1-line block ×10, first 2 shown]
	ds_read_b128 v[41:44], v58 offset:2816
	ds_read_b128 v[45:48], v58 offset:4224
	;; [unrolled: 1-line block ×10, first 2 shown]
	ds_read_b128 v[93:96], v59
	s_mov_b32 s8, 0xf8bb580b
	s_mov_b32 s4, 0x8764f0ba
	s_mov_b32 s14, 0x8eee2c13
	s_mov_b32 s6, 0xd9c712b6
	s_mov_b32 s18, 0x43842ef
	s_mov_b32 s16, 0x640f44db
	s_mov_b32 s24, 0xbb3a28a1
	s_mov_b32 s20, 0x7f775887
	s_mov_b32 s26, 0xfd768dbf
	s_mov_b32 s22, 0x9bcd5057
	s_mov_b32 s9, 0xbfe14ced
	s_mov_b32 s5, 0x3feaeb8c
	s_mov_b32 s15, 0xbfed1bb4
	s_mov_b32 s7, 0x3fda9628
	s_mov_b32 s19, 0xbfefac9e
	s_mov_b32 s17, 0xbfc2375f
	s_mov_b32 s25, 0xbfe82f19
	s_mov_b32 s21, 0xbfe4f49e
	s_mov_b32 s27, 0xbfd207e7
	s_mov_b32 s23, 0xbfeeb42a
	s_mov_b32 s29, 0x3fe14ced
	s_mov_b32 s31, 0x3fed1bb4
	s_mov_b32 s28, s8
	s_mov_b32 s30, s14
	s_mov_b32 s35, 0x3fefac9e
	s_mov_b32 s34, s18
	s_mov_b32 s39, 0x3fe82f19
	s_mov_b32 s38, s24
	s_mov_b32 s37, 0x3fd207e7
	s_mov_b32 s36, s26
	s_waitcnt vmcnt(0) lgkmcnt(0)
	s_barrier
	v_mul_f64 v[49:50], v[91:92], v[3:4]
	v_mul_f64 v[3:4], v[89:90], v[3:4]
	;; [unrolled: 1-line block ×18, first 2 shown]
	v_fma_f64 v[49:50], v[89:90], v[1:2], v[49:50]
	v_fma_f64 v[1:2], v[91:92], v[1:2], -v[3:4]
	v_fma_f64 v[3:4], v[41:42], v[5:6], v[97:98]
	v_fma_f64 v[5:6], v[43:44], v[5:6], -v[7:8]
	;; [unrolled: 2-line block ×5, first 2 shown]
	v_fma_f64 v[19:20], v[87:88], v[25:26], -v[107:108]
	v_fma_f64 v[41:42], v[69:70], v[21:22], v[105:106]
	v_fma_f64 v[21:22], v[71:72], v[21:22], -v[23:24]
	v_fma_f64 v[23:24], v[73:74], v[29:30], v[109:110]
	v_fma_f64 v[25:26], v[85:86], v[25:26], v[27:28]
	v_fma_f64 v[27:28], v[75:76], v[29:30], -v[31:32]
	v_fma_f64 v[29:30], v[77:78], v[33:34], v[111:112]
	v_fma_f64 v[31:32], v[79:80], v[33:34], -v[35:36]
	v_add_f64 v[33:34], v[1:2], -v[19:20]
	v_add_f64 v[35:36], v[1:2], v[19:20]
	v_add_f64 v[47:48], v[93:94], v[49:50]
	;; [unrolled: 1-line block ×3, first 2 shown]
	v_mul_f64 v[113:114], v[83:84], v[39:40]
	v_mul_f64 v[39:40], v[81:82], v[39:40]
	v_add_f64 v[45:46], v[49:50], -v[25:26]
	v_mul_f64 v[63:64], v[33:34], s[14:15]
	v_mul_f64 v[61:62], v[35:36], s[4:5]
	v_add_f64 v[47:48], v[47:48], v[3:4]
	v_add_f64 v[1:2], v[1:2], v[5:6]
	v_fma_f64 v[43:44], v[81:82], v[37:38], v[113:114]
	v_fma_f64 v[37:38], v[83:84], v[37:38], -v[39:40]
	v_add_f64 v[39:40], v[49:50], v[25:26]
	v_mul_f64 v[49:50], v[33:34], s[8:9]
	v_mul_f64 v[65:66], v[35:36], s[6:7]
	;; [unrolled: 1-line block ×3, first 2 shown]
	v_add_f64 v[47:48], v[47:48], v[7:8]
	v_add_f64 v[1:2], v[1:2], v[9:10]
	v_mul_f64 v[69:70], v[35:36], s[16:17]
	v_mul_f64 v[71:72], v[33:34], s[24:25]
	;; [unrolled: 1-line block ×5, first 2 shown]
	v_fma_f64 v[73:74], v[39:40], s[4:5], v[49:50]
	v_add_f64 v[47:48], v[47:48], v[11:12]
	v_add_f64 v[1:2], v[1:2], v[13:14]
	v_fma_f64 v[75:76], v[45:46], s[28:29], v[61:62]
	v_fma_f64 v[49:50], v[39:40], s[4:5], -v[49:50]
	v_fma_f64 v[61:62], v[45:46], s[8:9], v[61:62]
	v_fma_f64 v[77:78], v[39:40], s[6:7], v[63:64]
	v_fma_f64 v[63:64], v[39:40], s[6:7], -v[63:64]
	v_fma_f64 v[79:80], v[39:40], s[16:17], v[67:68]
	v_fma_f64 v[67:68], v[39:40], s[16:17], -v[67:68]
	;; [unrolled: 2-line block ×4, first 2 shown]
	v_fma_f64 v[39:40], v[45:46], s[30:31], v[65:66]
	v_fma_f64 v[65:66], v[45:46], s[14:15], v[65:66]
	;; [unrolled: 1-line block ×8, first 2 shown]
	v_add_f64 v[45:46], v[47:48], v[15:16]
	v_add_f64 v[1:2], v[1:2], v[17:18]
	;; [unrolled: 1-line block ×10, first 2 shown]
	v_add_f64 v[89:90], v[5:6], -v[37:38]
	v_add_f64 v[5:6], v[5:6], v[37:38]
	v_add_f64 v[97:98], v[3:4], v[43:44]
	;; [unrolled: 1-line block ×7, first 2 shown]
	v_mul_f64 v[101:102], v[89:90], s[14:15]
	v_add_f64 v[81:82], v[93:94], v[81:82]
	v_add_f64 v[71:72], v[93:94], v[71:72]
	;; [unrolled: 1-line block ×3, first 2 shown]
	v_add_f64 v[99:100], v[3:4], -v[43:44]
	v_mul_f64 v[103:104], v[5:6], s[6:7]
	v_add_f64 v[45:46], v[45:46], v[29:30]
	v_add_f64 v[1:2], v[1:2], v[31:32]
	;; [unrolled: 1-line block ×3, first 2 shown]
	v_fma_f64 v[93:94], v[97:98], s[6:7], v[101:102]
	v_add_f64 v[61:62], v[95:96], v[61:62]
	v_add_f64 v[39:40], v[95:96], v[39:40]
	;; [unrolled: 1-line block ×6, first 2 shown]
	v_mul_f64 v[43:44], v[89:90], s[24:25]
	v_add_f64 v[85:86], v[95:96], v[85:86]
	v_add_f64 v[91:92], v[95:96], v[91:92]
	;; [unrolled: 1-line block ×3, first 2 shown]
	v_mul_f64 v[45:46], v[5:6], s[20:21]
	v_fma_f64 v[95:96], v[99:100], s[30:31], v[103:104]
	v_add_f64 v[1:2], v[3:4], v[25:26]
	v_add_f64 v[3:4], v[37:38], v[19:20]
	v_fma_f64 v[19:20], v[97:98], s[6:7], -v[101:102]
	v_fma_f64 v[37:38], v[97:98], s[20:21], v[43:44]
	v_add_f64 v[47:48], v[93:94], v[47:48]
	v_mul_f64 v[93:94], v[89:90], s[36:37]
	v_fma_f64 v[25:26], v[99:100], s[14:15], v[103:104]
	v_fma_f64 v[101:102], v[99:100], s[38:39], v[45:46]
	v_add_f64 v[73:74], v[95:96], v[73:74]
	v_mul_f64 v[95:96], v[5:6], s[22:23]
	v_add_f64 v[19:20], v[19:20], v[49:50]
	v_add_f64 v[37:38], v[37:38], v[75:76]
	v_fma_f64 v[43:44], v[97:98], s[20:21], -v[43:44]
	v_fma_f64 v[49:50], v[97:98], s[22:23], v[93:94]
	v_mul_f64 v[75:76], v[89:90], s[34:35]
	v_add_f64 v[25:26], v[25:26], v[61:62]
	v_add_f64 v[39:40], v[101:102], v[39:40]
	v_fma_f64 v[45:46], v[99:100], s[24:25], v[45:46]
	v_fma_f64 v[61:62], v[99:100], s[26:27], v[95:96]
	v_fma_f64 v[93:94], v[97:98], s[22:23], -v[93:94]
	v_mul_f64 v[101:102], v[5:6], s[16:17]
	v_add_f64 v[43:44], v[43:44], v[63:64]
	v_add_f64 v[49:50], v[49:50], v[77:78]
	v_fma_f64 v[63:64], v[97:98], s[16:17], v[75:76]
	v_mul_f64 v[77:78], v[89:90], s[28:29]
	v_add_f64 v[45:46], v[45:46], v[65:66]
	v_add_f64 v[61:62], v[61:62], v[79:80]
	;; [unrolled: 1-line block ×3, first 2 shown]
	v_fma_f64 v[67:68], v[99:100], s[18:19], v[101:102]
	v_fma_f64 v[75:76], v[97:98], s[16:17], -v[75:76]
	v_fma_f64 v[79:80], v[99:100], s[34:35], v[101:102]
	v_mul_f64 v[5:6], v[5:6], s[4:5]
	v_add_f64 v[63:64], v[63:64], v[81:82]
	v_add_f64 v[81:82], v[9:10], -v[31:32]
	v_add_f64 v[9:10], v[9:10], v[31:32]
	v_fma_f64 v[31:32], v[97:98], s[4:5], v[77:78]
	v_add_f64 v[67:68], v[67:68], v[87:88]
	v_add_f64 v[71:72], v[75:76], v[71:72]
	;; [unrolled: 1-line block ×3, first 2 shown]
	v_fma_f64 v[79:80], v[99:100], s[8:9], v[5:6]
	v_add_f64 v[85:86], v[7:8], v[29:30]
	v_mul_f64 v[87:88], v[81:82], s[18:19]
	v_add_f64 v[7:8], v[7:8], -v[29:30]
	v_mul_f64 v[29:30], v[9:10], s[16:17]
	v_add_f64 v[31:32], v[31:32], v[83:84]
	v_fma_f64 v[77:78], v[97:98], s[4:5], -v[77:78]
	v_fma_f64 v[5:6], v[99:100], s[28:29], v[5:6]
	v_mul_f64 v[83:84], v[81:82], s[36:37]
	v_mul_f64 v[89:90], v[9:10], s[22:23]
	v_add_f64 v[79:80], v[79:80], v[91:92]
	v_fma_f64 v[91:92], v[85:86], s[16:17], v[87:88]
	v_fma_f64 v[93:94], v[7:8], s[34:35], v[29:30]
	v_fma_f64 v[87:88], v[85:86], s[16:17], -v[87:88]
	v_add_f64 v[33:34], v[77:78], v[33:34]
	v_add_f64 v[5:6], v[5:6], v[35:36]
	v_fma_f64 v[29:30], v[7:8], s[18:19], v[29:30]
	v_fma_f64 v[35:36], v[85:86], s[22:23], v[83:84]
	;; [unrolled: 1-line block ×4, first 2 shown]
	v_add_f64 v[47:48], v[91:92], v[47:48]
	v_add_f64 v[19:20], v[87:88], v[19:20]
	v_mul_f64 v[87:88], v[81:82], s[30:31]
	v_mul_f64 v[91:92], v[9:10], s[6:7]
	v_add_f64 v[25:26], v[29:30], v[25:26]
	v_add_f64 v[29:30], v[35:36], v[37:38]
	;; [unrolled: 1-line block ×3, first 2 shown]
	v_fma_f64 v[37:38], v[85:86], s[22:23], -v[83:84]
	v_mul_f64 v[77:78], v[81:82], s[8:9]
	v_add_f64 v[69:70], v[95:96], v[69:70]
	v_add_f64 v[73:74], v[93:94], v[73:74]
	v_fma_f64 v[39:40], v[7:8], s[36:37], v[89:90]
	v_fma_f64 v[83:84], v[85:86], s[6:7], v[87:88]
	;; [unrolled: 1-line block ×3, first 2 shown]
	v_fma_f64 v[87:88], v[85:86], s[6:7], -v[87:88]
	v_fma_f64 v[91:92], v[7:8], s[30:31], v[91:92]
	v_mul_f64 v[93:94], v[9:10], s[4:5]
	v_add_f64 v[37:38], v[37:38], v[43:44]
	v_fma_f64 v[43:44], v[85:86], s[4:5], v[77:78]
	v_add_f64 v[39:40], v[39:40], v[45:46]
	v_add_f64 v[45:46], v[83:84], v[49:50]
	;; [unrolled: 1-line block ×5, first 2 shown]
	v_fma_f64 v[69:70], v[7:8], s[28:29], v[93:94]
	v_mul_f64 v[81:82], v[81:82], s[24:25]
	v_mul_f64 v[9:10], v[9:10], s[20:21]
	v_add_f64 v[43:44], v[43:44], v[63:64]
	v_fma_f64 v[63:64], v[85:86], s[4:5], -v[77:78]
	v_add_f64 v[77:78], v[13:14], -v[27:28]
	v_add_f64 v[13:14], v[13:14], v[27:28]
	v_fma_f64 v[83:84], v[7:8], s[8:9], v[93:94]
	v_add_f64 v[27:28], v[69:70], v[67:68]
	v_fma_f64 v[67:68], v[85:86], s[20:21], v[81:82]
	v_fma_f64 v[69:70], v[7:8], s[38:39], v[9:10]
	v_fma_f64 v[81:82], v[85:86], s[20:21], -v[81:82]
	v_add_f64 v[85:86], v[11:12], v[23:24]
	v_mul_f64 v[87:88], v[77:78], s[24:25]
	v_add_f64 v[11:12], v[11:12], -v[23:24]
	v_mul_f64 v[23:24], v[13:14], s[20:21]
	v_add_f64 v[63:64], v[63:64], v[71:72]
	v_add_f64 v[71:72], v[83:84], v[75:76]
	;; [unrolled: 1-line block ×4, first 2 shown]
	v_fma_f64 v[7:8], v[7:8], s[24:25], v[9:10]
	v_fma_f64 v[9:10], v[85:86], s[20:21], v[87:88]
	v_mul_f64 v[75:76], v[77:78], s[34:35]
	v_fma_f64 v[69:70], v[11:12], s[38:39], v[23:24]
	v_fma_f64 v[23:24], v[11:12], s[24:25], v[23:24]
	v_add_f64 v[33:34], v[81:82], v[33:34]
	v_mul_f64 v[79:80], v[13:14], s[16:17]
	v_fma_f64 v[81:82], v[85:86], s[20:21], -v[87:88]
	v_add_f64 v[5:6], v[7:8], v[5:6]
	v_add_f64 v[7:8], v[9:10], v[47:48]
	v_mul_f64 v[83:84], v[13:14], s[22:23]
	v_add_f64 v[47:48], v[69:70], v[73:74]
	v_fma_f64 v[69:70], v[85:86], s[16:17], v[75:76]
	v_add_f64 v[23:24], v[23:24], v[25:26]
	v_mul_f64 v[25:26], v[13:14], s[4:5]
	v_mul_f64 v[9:10], v[77:78], s[8:9]
	v_fma_f64 v[73:74], v[11:12], s[18:19], v[79:80]
	v_add_f64 v[19:20], v[81:82], v[19:20]
	v_mul_f64 v[81:82], v[77:78], s[26:27]
	v_fma_f64 v[89:90], v[11:12], s[36:37], v[83:84]
	v_add_f64 v[29:30], v[69:70], v[29:30]
	v_fma_f64 v[75:76], v[85:86], s[16:17], -v[75:76]
	v_fma_f64 v[69:70], v[11:12], s[28:29], v[25:26]
	v_fma_f64 v[25:26], v[11:12], s[8:9], v[25:26]
	v_fma_f64 v[87:88], v[85:86], s[4:5], v[9:10]
	v_add_f64 v[35:36], v[73:74], v[35:36]
	v_fma_f64 v[9:10], v[85:86], s[4:5], -v[9:10]
	v_fma_f64 v[73:74], v[85:86], s[22:23], v[81:82]
	v_fma_f64 v[79:80], v[11:12], s[34:35], v[79:80]
	v_add_f64 v[37:38], v[75:76], v[37:38]
	v_add_f64 v[49:50], v[69:70], v[49:50]
	;; [unrolled: 1-line block ×4, first 2 shown]
	v_add_f64 v[25:26], v[17:18], -v[21:22]
	v_add_f64 v[27:28], v[17:18], v[21:22]
	v_add_f64 v[61:62], v[9:10], v[61:62]
	;; [unrolled: 1-line block ×3, first 2 shown]
	v_mul_f64 v[9:10], v[77:78], s[30:31]
	v_mul_f64 v[13:14], v[13:14], s[6:7]
	v_fma_f64 v[17:18], v[85:86], s[22:23], -v[81:82]
	v_fma_f64 v[21:22], v[11:12], s[26:27], v[83:84]
	v_add_f64 v[73:74], v[15:16], v[41:42]
	v_add_f64 v[41:42], v[15:16], -v[41:42]
	v_mul_f64 v[15:16], v[25:26], s[26:27]
	v_mul_f64 v[75:76], v[27:28], s[22:23]
	v_add_f64 v[39:40], v[79:80], v[39:40]
	v_fma_f64 v[77:78], v[85:86], s[6:7], v[9:10]
	v_fma_f64 v[79:80], v[11:12], s[14:15], v[13:14]
	v_add_f64 v[63:64], v[17:18], v[63:64]
	v_add_f64 v[71:72], v[21:22], v[71:72]
	v_fma_f64 v[9:10], v[85:86], s[6:7], -v[9:10]
	v_fma_f64 v[11:12], v[11:12], s[30:31], v[13:14]
	v_fma_f64 v[13:14], v[73:74], s[22:23], v[15:16]
	;; [unrolled: 1-line block ×3, first 2 shown]
	v_mul_f64 v[21:22], v[25:26], s[28:29]
	v_add_f64 v[77:78], v[77:78], v[31:32]
	v_add_f64 v[67:68], v[79:80], v[67:68]
	v_mul_f64 v[31:32], v[27:28], s[4:5]
	v_add_f64 v[79:80], v[9:10], v[33:34]
	v_add_f64 v[81:82], v[11:12], v[5:6]
	;; [unrolled: 1-line block ×4, first 2 shown]
	v_fma_f64 v[11:12], v[41:42], s[26:27], v[75:76]
	v_fma_f64 v[13:14], v[73:74], s[4:5], v[21:22]
	v_mul_f64 v[33:34], v[25:26], s[24:25]
	v_mul_f64 v[47:48], v[27:28], s[20:21]
	v_add_f64 v[45:46], v[87:88], v[45:46]
	v_fma_f64 v[9:10], v[73:74], s[22:23], -v[15:16]
	v_fma_f64 v[15:16], v[41:42], s[8:9], v[31:32]
	v_fma_f64 v[17:18], v[73:74], s[4:5], -v[21:22]
	v_fma_f64 v[21:22], v[41:42], s[28:29], v[31:32]
	v_add_f64 v[11:12], v[11:12], v[23:24]
	v_add_f64 v[13:14], v[13:14], v[29:30]
	v_fma_f64 v[23:24], v[73:74], s[20:21], v[33:34]
	v_fma_f64 v[29:30], v[41:42], s[38:39], v[47:48]
	v_add_f64 v[9:10], v[9:10], v[19:20]
	v_add_f64 v[15:16], v[15:16], v[35:36]
	;; [unrolled: 1-line block ×4, first 2 shown]
	v_fma_f64 v[31:32], v[73:74], s[20:21], -v[33:34]
	v_fma_f64 v[33:34], v[41:42], s[24:25], v[47:48]
	v_mul_f64 v[35:36], v[25:26], s[30:31]
	v_mul_f64 v[37:38], v[27:28], s[6:7]
	v_add_f64 v[21:22], v[23:24], v[45:46]
	v_add_f64 v[23:24], v[29:30], v[49:50]
	v_mul_f64 v[29:30], v[25:26], s[18:19]
	v_mul_f64 v[39:40], v[27:28], s[16:17]
	v_add_f64 v[25:26], v[31:32], v[61:62]
	v_add_f64 v[27:28], v[33:34], v[65:66]
	v_fma_f64 v[31:32], v[73:74], s[6:7], v[35:36]
	v_fma_f64 v[33:34], v[41:42], s[14:15], v[37:38]
	v_fma_f64 v[35:36], v[73:74], s[6:7], -v[35:36]
	v_fma_f64 v[37:38], v[41:42], s[30:31], v[37:38]
	v_fma_f64 v[45:46], v[73:74], s[16:17], v[29:30]
	v_fma_f64 v[47:48], v[41:42], s[34:35], v[39:40]
	v_fma_f64 v[49:50], v[73:74], s[16:17], -v[29:30]
	v_fma_f64 v[61:62], v[41:42], s[18:19], v[39:40]
	v_add_f64 v[29:30], v[31:32], v[43:44]
	v_add_f64 v[31:32], v[33:34], v[69:70]
	;; [unrolled: 1-line block ×5, first 2 shown]
	v_lshrrev_b32_e32 v45, 3, v57
	v_mul_u32_u24_e32 v45, 0x58, v45
	v_add_f64 v[39:40], v[47:48], v[67:68]
	v_or_b32_e32 v0, v45, v0
	v_add_f64 v[41:42], v[49:50], v[79:80]
	v_add_f64 v[43:44], v[61:62], v[81:82]
	v_lshlrev_b32_e32 v0, 4, v0
	v_add3_u32 v0, 0, v0, v60
	ds_write_b128 v0, v[1:4]
	ds_write_b128 v0, v[5:8] offset:128
	ds_write_b128 v0, v[13:16] offset:256
	;; [unrolled: 1-line block ×10, first 2 shown]
	s_waitcnt lgkmcnt(0)
	s_barrier
	s_and_saveexec_b64 s[38:39], s[0:1]
	s_cbranch_execz .LBB0_27
; %bb.26:
	v_mul_u32_u24_e32 v0, 10, v57
	v_lshlrev_b32_e32 v0, 4, v0
	global_load_dwordx4 v[4:7], v0, s[12:13] offset:1440
	global_load_dwordx4 v[8:11], v0, s[12:13] offset:1456
	;; [unrolled: 1-line block ×10, first 2 shown]
	ds_read_b128 v[30:33], v58 offset:7040
	ds_read_b128 v[48:51], v58 offset:5632
	ds_read_b128 v[34:37], v58 offset:8448
	ds_read_b128 v[73:76], v58 offset:9856
	ds_read_b128 v[77:80], v58 offset:4224
	ds_read_b128 v[81:84], v58 offset:2816
	ds_read_b128 v[85:88], v58 offset:11264
	ds_read_b128 v[89:92], v58 offset:12672
	ds_read_b128 v[0:3], v59
	ds_read_b128 v[93:96], v58 offset:1408
	ds_read_b128 v[97:100], v58 offset:14080
	s_waitcnt vmcnt(9) lgkmcnt(10)
	v_mul_f64 v[20:21], v[6:7], v[32:33]
	s_waitcnt vmcnt(8) lgkmcnt(8)
	v_mul_f64 v[38:39], v[10:11], v[36:37]
	v_mul_f64 v[6:7], v[30:31], v[6:7]
	;; [unrolled: 1-line block ×3, first 2 shown]
	s_waitcnt vmcnt(6) lgkmcnt(7)
	v_mul_f64 v[59:60], v[18:19], v[75:76]
	v_mul_f64 v[61:62], v[73:74], v[18:19]
	s_waitcnt vmcnt(5) lgkmcnt(6)
	v_mul_f64 v[67:68], v[24:25], v[79:80]
	s_waitcnt vmcnt(4) lgkmcnt(4)
	v_mul_f64 v[101:102], v[28:29], v[87:88]
	v_mul_f64 v[24:25], v[77:78], v[24:25]
	s_waitcnt vmcnt(1) lgkmcnt(1)
	v_mul_f64 v[111:112], v[65:66], v[95:96]
	s_waitcnt vmcnt(0) lgkmcnt(0)
	v_mul_f64 v[113:114], v[71:72], v[99:100]
	v_mul_f64 v[65:66], v[93:94], v[65:66]
	;; [unrolled: 1-line block ×8, first 2 shown]
	v_fma_f64 v[18:19], v[4:5], v[30:31], v[20:21]
	v_fma_f64 v[20:21], v[4:5], v[32:33], -v[6:7]
	v_fma_f64 v[34:35], v[8:9], v[34:35], v[38:39]
	v_fma_f64 v[38:39], v[8:9], v[36:37], -v[10:11]
	;; [unrolled: 2-line block ×3, first 2 shown]
	v_fma_f64 v[59:60], v[22:23], v[77:78], v[67:68]
	v_fma_f64 v[28:29], v[26:27], v[85:86], v[101:102]
	v_fma_f64 v[61:62], v[22:23], v[79:80], -v[24:25]
	v_fma_f64 v[85:86], v[63:64], v[93:94], v[111:112]
	v_fma_f64 v[93:94], v[63:64], v[95:96], -v[65:66]
	v_fma_f64 v[22:23], v[69:70], v[99:100], -v[71:72]
	;; [unrolled: 1-line block ×3, first 2 shown]
	v_fma_f64 v[24:25], v[44:45], v[89:90], v[107:108]
	v_fma_f64 v[77:78], v[40:41], v[83:84], -v[42:43]
	v_fma_f64 v[26:27], v[44:45], v[91:92], -v[109:110]
	v_fma_f64 v[16:17], v[69:70], v[97:98], v[113:114]
	v_mul_f64 v[57:58], v[14:15], v[50:51]
	v_mul_f64 v[14:15], v[48:49], v[14:15]
	v_add_f64 v[89:90], v[93:94], -v[22:23]
	v_fma_f64 v[67:68], v[40:41], v[81:82], v[105:106]
	v_add_f64 v[69:70], v[93:94], v[22:23]
	v_add_f64 v[81:82], v[61:62], -v[30:31]
	v_add_f64 v[79:80], v[77:78], -v[26:27]
	;; [unrolled: 1-line block ×3, first 2 shown]
	v_add_f64 v[73:74], v[85:86], v[16:17]
	v_fma_f64 v[46:47], v[12:13], v[48:49], v[57:58]
	v_mul_f64 v[6:7], v[89:90], s[26:27]
	v_fma_f64 v[48:49], v[12:13], v[50:51], -v[14:15]
	v_add_f64 v[99:100], v[67:68], -v[24:25]
	v_add_f64 v[65:66], v[67:68], v[24:25]
	v_mul_f64 v[10:11], v[79:80], s[28:29]
	v_mul_f64 v[4:5], v[97:98], s[26:27]
	v_add_f64 v[75:76], v[18:19], -v[34:35]
	v_add_f64 v[95:96], v[59:60], -v[28:29]
	v_fma_f64 v[127:128], v[73:74], s[22:23], -v[6:7]
	v_fma_f64 v[6:7], v[73:74], s[22:23], v[6:7]
	v_add_f64 v[63:64], v[77:78], v[26:27]
	v_add_f64 v[87:88], v[20:21], -v[38:39]
	v_add_f64 v[91:92], v[48:49], -v[36:37]
	v_add_f64 v[71:72], v[59:60], v[28:29]
	v_mul_f64 v[8:9], v[99:100], s[28:29]
	v_mul_f64 v[14:15], v[81:82], s[24:25]
	;; [unrolled: 1-line block ×3, first 2 shown]
	v_fma_f64 v[125:126], v[69:70], s[22:23], v[4:5]
	v_fma_f64 v[131:132], v[65:66], s[4:5], -v[10:11]
	v_fma_f64 v[4:5], v[69:70], s[22:23], -v[4:5]
	v_fma_f64 v[10:11], v[65:66], s[4:5], v[10:11]
	v_add_f64 v[6:7], v[0:1], v[6:7]
	v_add_f64 v[40:41], v[20:21], v[38:39]
	v_add_f64 v[83:84], v[46:47], -v[32:33]
	v_add_f64 v[44:45], v[61:62], v[30:31]
	v_add_f64 v[50:51], v[18:19], v[34:35]
	;; [unrolled: 1-line block ×3, first 2 shown]
	v_mul_f64 v[12:13], v[95:96], s[24:25]
	v_mul_f64 v[101:102], v[75:76], s[18:19]
	;; [unrolled: 1-line block ×6, first 2 shown]
	v_fma_f64 v[129:130], v[63:64], s[4:5], v[8:9]
	v_fma_f64 v[135:136], v[71:72], s[20:21], -v[14:15]
	v_fma_f64 v[8:9], v[63:64], s[4:5], -v[8:9]
	v_fma_f64 v[145:146], v[69:70], s[20:21], v[113:114]
	v_fma_f64 v[14:15], v[71:72], s[20:21], v[14:15]
	v_add_f64 v[125:126], v[2:3], v[125:126]
	v_add_f64 v[4:5], v[2:3], v[4:5]
	;; [unrolled: 1-line block ×4, first 2 shown]
	v_mul_f64 v[103:104], v[83:84], s[30:31]
	v_mul_f64 v[109:110], v[95:96], s[8:9]
	;; [unrolled: 1-line block ×3, first 2 shown]
	v_fma_f64 v[133:134], v[44:45], s[20:21], v[12:13]
	v_fma_f64 v[139:140], v[57:58], s[6:7], -v[107:108]
	v_fma_f64 v[141:142], v[40:41], s[16:17], v[101:102]
	v_fma_f64 v[143:144], v[50:51], s[16:17], -v[105:106]
	v_fma_f64 v[12:13], v[44:45], s[20:21], -v[12:13]
	v_fma_f64 v[147:148], v[63:64], s[16:17], v[111:112]
	v_fma_f64 v[149:150], v[73:74], s[20:21], -v[115:116]
	v_fma_f64 v[107:108], v[57:58], s[6:7], v[107:108]
	v_add_f64 v[125:126], v[129:130], v[125:126]
	v_add_f64 v[4:5], v[8:9], v[4:5]
	v_fma_f64 v[10:11], v[40:41], s[16:17], -v[101:102]
	v_fma_f64 v[101:102], v[50:51], s[16:17], v[105:106]
	v_add_f64 v[105:106], v[2:3], v[145:146]
	v_add_f64 v[6:7], v[14:15], v[6:7]
	v_mul_f64 v[119:120], v[83:84], s[26:27]
	v_mul_f64 v[121:122], v[81:82], s[8:9]
	v_fma_f64 v[137:138], v[42:43], s[6:7], v[103:104]
	v_fma_f64 v[103:104], v[42:43], s[6:7], -v[103:104]
	v_fma_f64 v[151:152], v[65:66], s[16:17], -v[117:118]
	v_fma_f64 v[8:9], v[44:45], s[4:5], v[109:110]
	v_add_f64 v[125:126], v[133:134], v[125:126]
	v_add_f64 v[4:5], v[12:13], v[4:5]
	;; [unrolled: 1-line block ×5, first 2 shown]
	v_fma_f64 v[113:114], v[69:70], s[20:21], -v[113:114]
	v_mul_f64 v[123:124], v[91:92], s[26:27]
	v_fma_f64 v[12:13], v[42:43], s[22:23], v[119:120]
	v_fma_f64 v[129:130], v[71:72], s[4:5], -v[121:122]
	v_add_f64 v[125:126], v[137:138], v[125:126]
	v_add_f64 v[103:104], v[103:104], v[4:5]
	v_add_f64 v[14:15], v[151:152], v[14:15]
	v_fma_f64 v[115:116], v[73:74], s[20:21], v[115:116]
	v_add_f64 v[105:106], v[8:9], v[105:106]
	v_add_f64 v[8:9], v[101:102], v[107:108]
	v_mul_f64 v[101:102], v[75:76], s[30:31]
	v_fma_f64 v[107:108], v[63:64], s[16:17], -v[111:112]
	v_add_f64 v[111:112], v[2:3], v[113:114]
	v_add_f64 v[127:128], v[0:1], v[127:128]
	v_add_f64 v[6:7], v[141:142], v[125:126]
	v_add_f64 v[10:11], v[10:11], v[103:104]
	v_add_f64 v[14:15], v[129:130], v[14:15]
	v_fma_f64 v[103:104], v[57:58], s[22:23], -v[123:124]
	v_fma_f64 v[117:118], v[65:66], s[16:17], v[117:118]
	v_add_f64 v[115:116], v[0:1], v[115:116]
	v_add_f64 v[12:13], v[12:13], v[105:106]
	v_fma_f64 v[105:106], v[40:41], s[6:7], v[101:102]
	v_mul_f64 v[125:126], v[97:98], s[18:19]
	v_add_f64 v[107:108], v[107:108], v[111:112]
	v_mul_f64 v[111:112], v[89:90], s[18:19]
	v_add_f64 v[127:128], v[131:132], v[127:128]
	v_add_f64 v[103:104], v[103:104], v[14:15]
	v_add_f64 v[115:116], v[117:118], v[115:116]
	v_fma_f64 v[109:110], v[44:45], s[4:5], -v[109:110]
	v_add_f64 v[14:15], v[105:106], v[12:13]
	v_mul_f64 v[105:106], v[99:100], s[36:37]
	v_fma_f64 v[12:13], v[69:70], s[16:17], v[125:126]
	v_mul_f64 v[117:118], v[79:80], s[36:37]
	v_fma_f64 v[129:130], v[73:74], s[16:17], -v[111:112]
	v_add_f64 v[127:128], v[135:136], v[127:128]
	v_fma_f64 v[121:122], v[71:72], s[4:5], v[121:122]
	v_add_f64 v[107:108], v[109:110], v[107:108]
	v_mul_f64 v[109:110], v[95:96], s[30:31]
	v_fma_f64 v[131:132], v[63:64], s[22:23], v[105:106]
	v_add_f64 v[12:13], v[2:3], v[12:13]
	v_fma_f64 v[133:134], v[65:66], s[22:23], -v[117:118]
	v_add_f64 v[129:130], v[0:1], v[129:130]
	v_mul_f64 v[135:136], v[81:82], s[30:31]
	v_add_f64 v[127:128], v[139:140], v[127:128]
	v_mul_f64 v[113:114], v[87:88], s[30:31]
	v_fma_f64 v[119:120], v[42:43], s[22:23], -v[119:120]
	v_fma_f64 v[123:124], v[57:58], s[22:23], v[123:124]
	v_add_f64 v[115:116], v[121:122], v[115:116]
	v_mul_f64 v[121:122], v[83:84], s[8:9]
	v_fma_f64 v[137:138], v[44:45], s[6:7], v[109:110]
	v_add_f64 v[12:13], v[131:132], v[12:13]
	v_add_f64 v[129:130], v[133:134], v[129:130]
	v_fma_f64 v[131:132], v[71:72], s[6:7], -v[135:136]
	v_add_f64 v[4:5], v[143:144], v[127:128]
	v_fma_f64 v[127:128], v[50:51], s[6:7], -v[113:114]
	v_fma_f64 v[101:102], v[40:41], s[6:7], -v[101:102]
	v_add_f64 v[107:108], v[119:120], v[107:108]
	v_mul_f64 v[119:120], v[91:92], s[8:9]
	v_fma_f64 v[113:114], v[50:51], s[6:7], v[113:114]
	v_add_f64 v[115:116], v[123:124], v[115:116]
	v_fma_f64 v[123:124], v[42:43], s[4:5], v[121:122]
	v_fma_f64 v[125:126], v[69:70], s[16:17], -v[125:126]
	v_add_f64 v[133:134], v[137:138], v[12:13]
	v_add_f64 v[129:130], v[131:132], v[129:130]
	v_mul_f64 v[131:132], v[75:76], s[24:25]
	v_fma_f64 v[137:138], v[57:58], s[4:5], -v[119:120]
	v_add_f64 v[12:13], v[127:128], v[103:104]
	v_add_f64 v[103:104], v[101:102], v[107:108]
	v_fma_f64 v[105:106], v[63:64], s[22:23], -v[105:106]
	v_add_f64 v[107:108], v[2:3], v[125:126]
	v_add_f64 v[101:102], v[113:114], v[115:116]
	;; [unrolled: 1-line block ×3, first 2 shown]
	v_fma_f64 v[115:116], v[40:41], s[20:21], v[131:132]
	v_mul_f64 v[125:126], v[97:98], s[14:15]
	v_fma_f64 v[111:112], v[73:74], s[16:17], v[111:112]
	v_add_f64 v[123:124], v[137:138], v[129:130]
	v_fma_f64 v[109:110], v[44:45], s[6:7], -v[109:110]
	v_add_f64 v[105:106], v[105:106], v[107:108]
	v_mul_f64 v[129:130], v[89:90], s[14:15]
	v_fma_f64 v[117:118], v[65:66], s[22:23], v[117:118]
	v_add_f64 v[107:108], v[115:116], v[113:114]
	v_mul_f64 v[113:114], v[99:100], s[24:25]
	v_fma_f64 v[115:116], v[69:70], s[6:7], v[125:126]
	v_add_f64 v[111:112], v[0:1], v[111:112]
	v_add_f64 v[85:86], v[85:86], v[0:1]
	;; [unrolled: 1-line block ×4, first 2 shown]
	v_fma_f64 v[109:110], v[73:74], s[6:7], -v[129:130]
	v_mul_f64 v[137:138], v[79:80], s[24:25]
	v_fma_f64 v[139:140], v[63:64], s[20:21], v[113:114]
	v_add_f64 v[115:116], v[2:3], v[115:116]
	v_mul_f64 v[141:142], v[95:96], s[36:37]
	v_add_f64 v[111:112], v[117:118], v[111:112]
	v_fma_f64 v[117:118], v[71:72], s[6:7], v[135:136]
	v_add_f64 v[67:68], v[67:68], v[85:86]
	v_mul_f64 v[127:128], v[87:88], s[24:25]
	v_add_f64 v[77:78], v[77:78], v[93:94]
	v_add_f64 v[109:110], v[0:1], v[109:110]
	v_fma_f64 v[135:136], v[65:66], s[20:21], -v[137:138]
	v_mul_f64 v[143:144], v[81:82], s[36:37]
	v_add_f64 v[115:116], v[139:140], v[115:116]
	v_fma_f64 v[139:140], v[44:45], s[22:23], v[141:142]
	v_mul_f64 v[145:146], v[83:84], s[34:35]
	v_fma_f64 v[119:120], v[57:58], s[4:5], v[119:120]
	v_add_f64 v[111:112], v[117:118], v[111:112]
	v_add_f64 v[59:60], v[59:60], v[67:68]
	v_fma_f64 v[133:134], v[50:51], s[20:21], -v[127:128]
	v_fma_f64 v[121:122], v[42:43], s[4:5], -v[121:122]
	v_add_f64 v[61:62], v[61:62], v[77:78]
	v_fma_f64 v[117:118], v[40:41], s[20:21], -v[131:132]
	v_add_f64 v[109:110], v[135:136], v[109:110]
	;; [unrolled: 2-line block ×3, first 2 shown]
	v_fma_f64 v[139:140], v[42:43], s[16:17], v[145:146]
	v_mul_f64 v[147:148], v[75:76], s[28:29]
	v_fma_f64 v[127:128], v[50:51], s[20:21], v[127:128]
	v_add_f64 v[119:120], v[119:120], v[111:112]
	v_mul_f64 v[89:90], v[89:90], s[8:9]
	v_add_f64 v[46:47], v[46:47], v[59:60]
	v_add_f64 v[121:122], v[121:122], v[105:106]
	;; [unrolled: 1-line block ×3, first 2 shown]
	v_fma_f64 v[123:124], v[69:70], s[6:7], -v[125:126]
	v_add_f64 v[48:49], v[48:49], v[61:62]
	v_mul_f64 v[135:136], v[91:92], s[34:35]
	v_add_f64 v[131:132], v[131:132], v[109:110]
	v_add_f64 v[115:116], v[139:140], v[115:116]
	v_fma_f64 v[125:126], v[40:41], s[4:5], v[147:148]
	v_add_f64 v[109:110], v[127:128], v[119:120]
	v_mul_f64 v[119:120], v[97:98], s[8:9]
	v_mul_f64 v[59:60], v[79:80], s[14:15]
	v_fma_f64 v[61:62], v[73:74], s[4:5], -v[89:90]
	v_add_f64 v[18:19], v[18:19], v[46:47]
	v_add_f64 v[111:112], v[117:118], v[121:122]
	v_add_f64 v[121:122], v[2:3], v[123:124]
	v_fma_f64 v[123:124], v[73:74], s[6:7], v[129:130]
	v_add_f64 v[20:21], v[20:21], v[48:49]
	v_fma_f64 v[149:150], v[57:58], s[16:17], -v[135:136]
	v_add_f64 v[97:98], v[125:126], v[115:116]
	v_fma_f64 v[125:126], v[69:70], s[4:5], v[119:120]
	v_mul_f64 v[99:100], v[99:100], s[14:15]
	v_fma_f64 v[69:70], v[69:70], s[4:5], -v[119:120]
	v_fma_f64 v[73:74], v[73:74], s[4:5], v[89:90]
	v_mul_f64 v[81:82], v[81:82], s[18:19]
	v_fma_f64 v[46:47], v[65:66], s[6:7], -v[59:60]
	v_add_f64 v[48:49], v[0:1], v[61:62]
	v_add_f64 v[18:19], v[34:35], v[18:19]
	v_fma_f64 v[113:114], v[63:64], s[20:21], -v[113:114]
	v_mul_f64 v[133:134], v[87:88], s[28:29]
	v_fma_f64 v[127:128], v[65:66], s[20:21], v[137:138]
	v_add_f64 v[123:124], v[0:1], v[123:124]
	v_add_f64 v[20:21], v[38:39], v[20:21]
	;; [unrolled: 1-line block ×4, first 2 shown]
	v_fma_f64 v[129:130], v[63:64], s[6:7], v[99:100]
	v_mul_f64 v[131:132], v[95:96], s[18:19]
	v_fma_f64 v[61:62], v[63:64], s[6:7], -v[99:100]
	v_add_f64 v[2:3], v[2:3], v[69:70]
	v_fma_f64 v[59:60], v[65:66], s[6:7], v[59:60]
	v_add_f64 v[0:1], v[0:1], v[73:74]
	v_mul_f64 v[79:80], v[91:92], s[24:25]
	v_fma_f64 v[34:35], v[71:72], s[16:17], -v[81:82]
	v_add_f64 v[38:39], v[46:47], v[48:49]
	v_add_f64 v[18:19], v[32:33], v[18:19]
	;; [unrolled: 1-line block ×3, first 2 shown]
	v_fma_f64 v[121:122], v[44:45], s[22:23], -v[141:142]
	v_fma_f64 v[115:116], v[50:51], s[4:5], -v[133:134]
	v_add_f64 v[123:124], v[127:128], v[123:124]
	v_fma_f64 v[127:128], v[71:72], s[22:23], v[143:144]
	v_add_f64 v[20:21], v[36:37], v[20:21]
	v_add_f64 v[125:126], v[129:130], v[125:126]
	v_fma_f64 v[129:130], v[44:45], s[16:17], v[131:132]
	v_mul_f64 v[83:84], v[83:84], s[24:25]
	v_fma_f64 v[44:45], v[44:45], s[16:17], -v[131:132]
	v_add_f64 v[2:3], v[61:62], v[2:3]
	v_fma_f64 v[46:47], v[71:72], s[16:17], v[81:82]
	v_add_f64 v[0:1], v[59:60], v[0:1]
	v_mul_f64 v[87:88], v[87:88], s[26:27]
	v_fma_f64 v[32:33], v[57:58], s[20:21], -v[79:80]
	v_add_f64 v[34:35], v[34:35], v[38:39]
	v_add_f64 v[18:19], v[28:29], v[18:19]
	;; [unrolled: 1-line block ×3, first 2 shown]
	v_fma_f64 v[121:122], v[42:43], s[16:17], -v[145:146]
	v_add_f64 v[95:96], v[115:116], v[117:118]
	v_add_f64 v[93:94], v[127:128], v[123:124]
	v_fma_f64 v[115:116], v[57:58], s[16:17], v[135:136]
	v_mul_f64 v[75:76], v[75:76], s[26:27]
	v_add_f64 v[20:21], v[30:31], v[20:21]
	v_fma_f64 v[36:37], v[42:43], s[20:21], -v[83:84]
	v_add_f64 v[2:3], v[44:45], v[2:3]
	v_fma_f64 v[38:39], v[57:58], s[20:21], v[79:80]
	v_add_f64 v[0:1], v[46:47], v[0:1]
	v_fma_f64 v[117:118], v[42:43], s[20:21], v[83:84]
	v_fma_f64 v[28:29], v[50:51], s[22:23], -v[87:88]
	v_add_f64 v[30:31], v[32:33], v[34:35]
	v_add_f64 v[42:43], v[24:25], v[18:19]
	;; [unrolled: 1-line block ×4, first 2 shown]
	v_fma_f64 v[67:68], v[40:41], s[4:5], -v[147:148]
	v_add_f64 v[93:94], v[115:116], v[93:94]
	v_fma_f64 v[115:116], v[40:41], s[22:23], v[75:76]
	v_fma_f64 v[32:33], v[40:41], s[22:23], -v[75:76]
	v_add_f64 v[40:41], v[26:27], v[20:21]
	v_mul_lo_u32 v139, s3, v54
	v_mul_lo_u32 v140, s2, v55
	v_mad_u64_u32 v[54:55], s[0:1], s2, v54, 0
	v_add_f64 v[34:35], v[36:37], v[2:3]
	v_fma_f64 v[36:37], v[50:51], s[22:23], v[87:88]
	v_add_f64 v[38:39], v[38:39], v[0:1]
	v_fma_f64 v[77:78], v[50:51], s[4:5], v[133:134]
	v_add3_u32 v55, v55, v140, v139
	v_add_f64 v[18:19], v[28:29], v[30:31]
	v_add_f64 v[28:29], v[16:17], v[42:43]
	v_lshlrev_b64 v[16:17], 4, v[54:55]
	v_add_f64 v[113:114], v[117:118], v[113:114]
	v_add_f64 v[30:31], v[22:23], v[40:41]
	v_mov_b32_e32 v22, s11
	v_add_co_u32_e32 v23, vcc, s10, v16
	v_add_f64 v[26:27], v[32:33], v[34:35]
	v_add_f64 v[24:25], v[36:37], v[38:39]
	v_addc_co_u32_e32 v22, vcc, v22, v17, vcc
	v_lshlrev_b64 v[16:17], 4, v[52:53]
	v_add_f64 v[2:3], v[67:68], v[85:86]
	v_add_f64 v[0:1], v[77:78], v[93:94]
	v_mov_b32_e32 v57, 0
	v_add_co_u32_e32 v23, vcc, v23, v16
	v_addc_co_u32_e32 v22, vcc, v22, v17, vcc
	v_lshlrev_b64 v[16:17], 4, v[56:57]
	v_add_f64 v[20:21], v[115:116], v[113:114]
	v_add_co_u32_e32 v16, vcc, v23, v16
	v_addc_co_u32_e32 v17, vcc, v22, v17, vcc
	s_movk_i32 s0, 0x1000
	global_store_dwordx4 v[16:17], v[28:31], off
	global_store_dwordx4 v[16:17], v[24:27], off offset:1408
	global_store_dwordx4 v[16:17], v[0:3], off offset:2816
	s_nop 0
	v_add_co_u32_e32 v0, vcc, s0, v16
	v_addc_co_u32_e32 v1, vcc, 0, v17, vcc
	s_movk_i32 s0, 0x2000
	global_store_dwordx4 v[0:1], v[109:112], off offset:128
	global_store_dwordx4 v[0:1], v[101:104], off offset:1536
	;; [unrolled: 1-line block ×3, first 2 shown]
	v_add_co_u32_e32 v0, vcc, s0, v16
	v_addc_co_u32_e32 v1, vcc, 0, v17, vcc
	global_store_dwordx4 v[0:1], v[4:7], off offset:256
	global_store_dwordx4 v[0:1], v[12:15], off offset:1664
	;; [unrolled: 1-line block ×3, first 2 shown]
	v_add_co_u32_e32 v0, vcc, 0x3000, v16
	v_addc_co_u32_e32 v1, vcc, 0, v17, vcc
	global_store_dwordx4 v[0:1], v[95:98], off offset:384
	global_store_dwordx4 v[0:1], v[18:21], off offset:1792
.LBB0_27:
	s_endpgm
	.section	.rodata,"a",@progbits
	.p2align	6, 0x0
	.amdhsa_kernel fft_rtc_back_len968_factors_2_2_2_11_11_wgs_176_tpt_88_dp_op_CI_CI_unitstride_sbrr_dirReg
		.amdhsa_group_segment_fixed_size 0
		.amdhsa_private_segment_fixed_size 0
		.amdhsa_kernarg_size 104
		.amdhsa_user_sgpr_count 6
		.amdhsa_user_sgpr_private_segment_buffer 1
		.amdhsa_user_sgpr_dispatch_ptr 0
		.amdhsa_user_sgpr_queue_ptr 0
		.amdhsa_user_sgpr_kernarg_segment_ptr 1
		.amdhsa_user_sgpr_dispatch_id 0
		.amdhsa_user_sgpr_flat_scratch_init 0
		.amdhsa_user_sgpr_private_segment_size 0
		.amdhsa_uses_dynamic_stack 0
		.amdhsa_system_sgpr_private_segment_wavefront_offset 0
		.amdhsa_system_sgpr_workgroup_id_x 1
		.amdhsa_system_sgpr_workgroup_id_y 0
		.amdhsa_system_sgpr_workgroup_id_z 0
		.amdhsa_system_sgpr_workgroup_info 0
		.amdhsa_system_vgpr_workitem_id 0
		.amdhsa_next_free_vgpr 153
		.amdhsa_next_free_sgpr 40
		.amdhsa_reserve_vcc 1
		.amdhsa_reserve_flat_scratch 0
		.amdhsa_float_round_mode_32 0
		.amdhsa_float_round_mode_16_64 0
		.amdhsa_float_denorm_mode_32 3
		.amdhsa_float_denorm_mode_16_64 3
		.amdhsa_dx10_clamp 1
		.amdhsa_ieee_mode 1
		.amdhsa_fp16_overflow 0
		.amdhsa_exception_fp_ieee_invalid_op 0
		.amdhsa_exception_fp_denorm_src 0
		.amdhsa_exception_fp_ieee_div_zero 0
		.amdhsa_exception_fp_ieee_overflow 0
		.amdhsa_exception_fp_ieee_underflow 0
		.amdhsa_exception_fp_ieee_inexact 0
		.amdhsa_exception_int_div_zero 0
	.end_amdhsa_kernel
	.text
.Lfunc_end0:
	.size	fft_rtc_back_len968_factors_2_2_2_11_11_wgs_176_tpt_88_dp_op_CI_CI_unitstride_sbrr_dirReg, .Lfunc_end0-fft_rtc_back_len968_factors_2_2_2_11_11_wgs_176_tpt_88_dp_op_CI_CI_unitstride_sbrr_dirReg
                                        ; -- End function
	.section	.AMDGPU.csdata,"",@progbits
; Kernel info:
; codeLenInByte = 9768
; NumSgprs: 44
; NumVgprs: 153
; ScratchSize: 0
; MemoryBound: 1
; FloatMode: 240
; IeeeMode: 1
; LDSByteSize: 0 bytes/workgroup (compile time only)
; SGPRBlocks: 5
; VGPRBlocks: 38
; NumSGPRsForWavesPerEU: 44
; NumVGPRsForWavesPerEU: 153
; Occupancy: 1
; WaveLimiterHint : 1
; COMPUTE_PGM_RSRC2:SCRATCH_EN: 0
; COMPUTE_PGM_RSRC2:USER_SGPR: 6
; COMPUTE_PGM_RSRC2:TRAP_HANDLER: 0
; COMPUTE_PGM_RSRC2:TGID_X_EN: 1
; COMPUTE_PGM_RSRC2:TGID_Y_EN: 0
; COMPUTE_PGM_RSRC2:TGID_Z_EN: 0
; COMPUTE_PGM_RSRC2:TIDIG_COMP_CNT: 0
	.type	__hip_cuid_4dfa55ae8cf02caa,@object ; @__hip_cuid_4dfa55ae8cf02caa
	.section	.bss,"aw",@nobits
	.globl	__hip_cuid_4dfa55ae8cf02caa
__hip_cuid_4dfa55ae8cf02caa:
	.byte	0                               ; 0x0
	.size	__hip_cuid_4dfa55ae8cf02caa, 1

	.ident	"AMD clang version 19.0.0git (https://github.com/RadeonOpenCompute/llvm-project roc-6.4.0 25133 c7fe45cf4b819c5991fe208aaa96edf142730f1d)"
	.section	".note.GNU-stack","",@progbits
	.addrsig
	.addrsig_sym __hip_cuid_4dfa55ae8cf02caa
	.amdgpu_metadata
---
amdhsa.kernels:
  - .args:
      - .actual_access:  read_only
        .address_space:  global
        .offset:         0
        .size:           8
        .value_kind:     global_buffer
      - .offset:         8
        .size:           8
        .value_kind:     by_value
      - .actual_access:  read_only
        .address_space:  global
        .offset:         16
        .size:           8
        .value_kind:     global_buffer
      - .actual_access:  read_only
        .address_space:  global
        .offset:         24
        .size:           8
        .value_kind:     global_buffer
      - .actual_access:  read_only
        .address_space:  global
        .offset:         32
        .size:           8
        .value_kind:     global_buffer
      - .offset:         40
        .size:           8
        .value_kind:     by_value
      - .actual_access:  read_only
        .address_space:  global
        .offset:         48
        .size:           8
        .value_kind:     global_buffer
      - .actual_access:  read_only
        .address_space:  global
        .offset:         56
        .size:           8
        .value_kind:     global_buffer
      - .offset:         64
        .size:           4
        .value_kind:     by_value
      - .actual_access:  read_only
        .address_space:  global
        .offset:         72
        .size:           8
        .value_kind:     global_buffer
      - .actual_access:  read_only
        .address_space:  global
        .offset:         80
        .size:           8
        .value_kind:     global_buffer
      - .actual_access:  read_only
        .address_space:  global
        .offset:         88
        .size:           8
        .value_kind:     global_buffer
      - .actual_access:  write_only
        .address_space:  global
        .offset:         96
        .size:           8
        .value_kind:     global_buffer
    .group_segment_fixed_size: 0
    .kernarg_segment_align: 8
    .kernarg_segment_size: 104
    .language:       OpenCL C
    .language_version:
      - 2
      - 0
    .max_flat_workgroup_size: 176
    .name:           fft_rtc_back_len968_factors_2_2_2_11_11_wgs_176_tpt_88_dp_op_CI_CI_unitstride_sbrr_dirReg
    .private_segment_fixed_size: 0
    .sgpr_count:     44
    .sgpr_spill_count: 0
    .symbol:         fft_rtc_back_len968_factors_2_2_2_11_11_wgs_176_tpt_88_dp_op_CI_CI_unitstride_sbrr_dirReg.kd
    .uniform_work_group_size: 1
    .uses_dynamic_stack: false
    .vgpr_count:     153
    .vgpr_spill_count: 0
    .wavefront_size: 64
amdhsa.target:   amdgcn-amd-amdhsa--gfx906
amdhsa.version:
  - 1
  - 2
...

	.end_amdgpu_metadata
